;; amdgpu-corpus repo=ROCm/rocFFT kind=compiled arch=gfx906 opt=O3
	.text
	.amdgcn_target "amdgcn-amd-amdhsa--gfx906"
	.amdhsa_code_object_version 6
	.protected	fft_rtc_fwd_len1560_factors_13_2_2_10_3_wgs_156_tpt_156_dp_op_CI_CI_unitstride_sbrr_C2R_dirReg ; -- Begin function fft_rtc_fwd_len1560_factors_13_2_2_10_3_wgs_156_tpt_156_dp_op_CI_CI_unitstride_sbrr_C2R_dirReg
	.globl	fft_rtc_fwd_len1560_factors_13_2_2_10_3_wgs_156_tpt_156_dp_op_CI_CI_unitstride_sbrr_C2R_dirReg
	.p2align	8
	.type	fft_rtc_fwd_len1560_factors_13_2_2_10_3_wgs_156_tpt_156_dp_op_CI_CI_unitstride_sbrr_C2R_dirReg,@function
fft_rtc_fwd_len1560_factors_13_2_2_10_3_wgs_156_tpt_156_dp_op_CI_CI_unitstride_sbrr_C2R_dirReg: ; @fft_rtc_fwd_len1560_factors_13_2_2_10_3_wgs_156_tpt_156_dp_op_CI_CI_unitstride_sbrr_C2R_dirReg
; %bb.0:
	s_load_dwordx4 s[8:11], s[4:5], 0x58
	s_load_dwordx4 s[12:15], s[4:5], 0x0
	;; [unrolled: 1-line block ×3, first 2 shown]
	v_mul_u32_u24_e32 v1, 0x1a5, v0
	v_add_u32_sdwa v5, s6, v1 dst_sel:DWORD dst_unused:UNUSED_PAD src0_sel:DWORD src1_sel:WORD_1
	v_mov_b32_e32 v3, 0
	s_waitcnt lgkmcnt(0)
	v_cmp_lt_u64_e64 s[0:1], s[14:15], 2
	v_mov_b32_e32 v1, 0
	v_mov_b32_e32 v6, v3
	s_and_b64 vcc, exec, s[0:1]
	v_mov_b32_e32 v2, 0
	s_cbranch_vccnz .LBB0_8
; %bb.1:
	s_load_dwordx2 s[0:1], s[4:5], 0x10
	s_add_u32 s2, s18, 8
	s_addc_u32 s3, s19, 0
	s_add_u32 s6, s16, 8
	v_mov_b32_e32 v1, 0
	s_addc_u32 s7, s17, 0
	v_mov_b32_e32 v2, 0
	s_waitcnt lgkmcnt(0)
	s_add_u32 s20, s0, 8
	v_mov_b32_e32 v65, v2
	s_addc_u32 s21, s1, 0
	s_mov_b64 s[22:23], 1
	v_mov_b32_e32 v64, v1
.LBB0_2:                                ; =>This Inner Loop Header: Depth=1
	s_load_dwordx2 s[24:25], s[20:21], 0x0
                                        ; implicit-def: $vgpr66_vgpr67
	s_waitcnt lgkmcnt(0)
	v_or_b32_e32 v4, s25, v6
	v_cmp_ne_u64_e32 vcc, 0, v[3:4]
	s_and_saveexec_b64 s[0:1], vcc
	s_xor_b64 s[26:27], exec, s[0:1]
	s_cbranch_execz .LBB0_4
; %bb.3:                                ;   in Loop: Header=BB0_2 Depth=1
	v_cvt_f32_u32_e32 v4, s24
	v_cvt_f32_u32_e32 v7, s25
	s_sub_u32 s0, 0, s24
	s_subb_u32 s1, 0, s25
	v_mac_f32_e32 v4, 0x4f800000, v7
	v_rcp_f32_e32 v4, v4
	v_mul_f32_e32 v4, 0x5f7ffffc, v4
	v_mul_f32_e32 v7, 0x2f800000, v4
	v_trunc_f32_e32 v7, v7
	v_mac_f32_e32 v4, 0xcf800000, v7
	v_cvt_u32_f32_e32 v7, v7
	v_cvt_u32_f32_e32 v4, v4
	v_mul_lo_u32 v8, s0, v7
	v_mul_hi_u32 v9, s0, v4
	v_mul_lo_u32 v11, s1, v4
	v_mul_lo_u32 v10, s0, v4
	v_add_u32_e32 v8, v9, v8
	v_add_u32_e32 v8, v8, v11
	v_mul_hi_u32 v9, v4, v10
	v_mul_lo_u32 v11, v4, v8
	v_mul_hi_u32 v13, v4, v8
	v_mul_hi_u32 v12, v7, v10
	v_mul_lo_u32 v10, v7, v10
	v_mul_hi_u32 v14, v7, v8
	v_add_co_u32_e32 v9, vcc, v9, v11
	v_addc_co_u32_e32 v11, vcc, 0, v13, vcc
	v_mul_lo_u32 v8, v7, v8
	v_add_co_u32_e32 v9, vcc, v9, v10
	v_addc_co_u32_e32 v9, vcc, v11, v12, vcc
	v_addc_co_u32_e32 v10, vcc, 0, v14, vcc
	v_add_co_u32_e32 v8, vcc, v9, v8
	v_addc_co_u32_e32 v9, vcc, 0, v10, vcc
	v_add_co_u32_e32 v4, vcc, v4, v8
	v_addc_co_u32_e32 v7, vcc, v7, v9, vcc
	v_mul_lo_u32 v8, s0, v7
	v_mul_hi_u32 v9, s0, v4
	v_mul_lo_u32 v10, s1, v4
	v_mul_lo_u32 v11, s0, v4
	v_add_u32_e32 v8, v9, v8
	v_add_u32_e32 v8, v8, v10
	v_mul_lo_u32 v12, v4, v8
	v_mul_hi_u32 v13, v4, v11
	v_mul_hi_u32 v14, v4, v8
	v_mul_hi_u32 v10, v7, v11
	v_mul_lo_u32 v11, v7, v11
	v_mul_hi_u32 v9, v7, v8
	v_add_co_u32_e32 v12, vcc, v13, v12
	v_addc_co_u32_e32 v13, vcc, 0, v14, vcc
	v_mul_lo_u32 v8, v7, v8
	v_add_co_u32_e32 v11, vcc, v12, v11
	v_addc_co_u32_e32 v10, vcc, v13, v10, vcc
	v_addc_co_u32_e32 v9, vcc, 0, v9, vcc
	v_add_co_u32_e32 v8, vcc, v10, v8
	v_addc_co_u32_e32 v9, vcc, 0, v9, vcc
	v_add_co_u32_e32 v4, vcc, v4, v8
	v_addc_co_u32_e32 v9, vcc, v7, v9, vcc
	v_mad_u64_u32 v[7:8], s[0:1], v5, v9, 0
	v_mul_hi_u32 v10, v5, v4
	v_add_co_u32_e32 v11, vcc, v10, v7
	v_addc_co_u32_e32 v12, vcc, 0, v8, vcc
	v_mad_u64_u32 v[7:8], s[0:1], v6, v4, 0
	v_mad_u64_u32 v[9:10], s[0:1], v6, v9, 0
	v_add_co_u32_e32 v4, vcc, v11, v7
	v_addc_co_u32_e32 v4, vcc, v12, v8, vcc
	v_addc_co_u32_e32 v7, vcc, 0, v10, vcc
	v_add_co_u32_e32 v4, vcc, v4, v9
	v_addc_co_u32_e32 v9, vcc, 0, v7, vcc
	v_mul_lo_u32 v10, s25, v4
	v_mul_lo_u32 v11, s24, v9
	v_mad_u64_u32 v[7:8], s[0:1], s24, v4, 0
	v_add3_u32 v8, v8, v11, v10
	v_sub_u32_e32 v10, v6, v8
	v_mov_b32_e32 v11, s25
	v_sub_co_u32_e32 v7, vcc, v5, v7
	v_subb_co_u32_e64 v10, s[0:1], v10, v11, vcc
	v_subrev_co_u32_e64 v11, s[0:1], s24, v7
	v_subbrev_co_u32_e64 v10, s[0:1], 0, v10, s[0:1]
	v_cmp_le_u32_e64 s[0:1], s25, v10
	v_cndmask_b32_e64 v12, 0, -1, s[0:1]
	v_cmp_le_u32_e64 s[0:1], s24, v11
	v_cndmask_b32_e64 v11, 0, -1, s[0:1]
	v_cmp_eq_u32_e64 s[0:1], s25, v10
	v_cndmask_b32_e64 v10, v12, v11, s[0:1]
	v_add_co_u32_e64 v11, s[0:1], 2, v4
	v_addc_co_u32_e64 v12, s[0:1], 0, v9, s[0:1]
	v_add_co_u32_e64 v13, s[0:1], 1, v4
	v_addc_co_u32_e64 v14, s[0:1], 0, v9, s[0:1]
	v_subb_co_u32_e32 v8, vcc, v6, v8, vcc
	v_cmp_ne_u32_e64 s[0:1], 0, v10
	v_cmp_le_u32_e32 vcc, s25, v8
	v_cndmask_b32_e64 v10, v14, v12, s[0:1]
	v_cndmask_b32_e64 v12, 0, -1, vcc
	v_cmp_le_u32_e32 vcc, s24, v7
	v_cndmask_b32_e64 v7, 0, -1, vcc
	v_cmp_eq_u32_e32 vcc, s25, v8
	v_cndmask_b32_e32 v7, v12, v7, vcc
	v_cmp_ne_u32_e32 vcc, 0, v7
	v_cndmask_b32_e64 v7, v13, v11, s[0:1]
	v_cndmask_b32_e32 v67, v9, v10, vcc
	v_cndmask_b32_e32 v66, v4, v7, vcc
.LBB0_4:                                ;   in Loop: Header=BB0_2 Depth=1
	s_andn2_saveexec_b64 s[0:1], s[26:27]
	s_cbranch_execz .LBB0_6
; %bb.5:                                ;   in Loop: Header=BB0_2 Depth=1
	v_cvt_f32_u32_e32 v4, s24
	s_sub_i32 s26, 0, s24
	v_mov_b32_e32 v67, v3
	v_rcp_iflag_f32_e32 v4, v4
	v_mul_f32_e32 v4, 0x4f7ffffe, v4
	v_cvt_u32_f32_e32 v4, v4
	v_mul_lo_u32 v7, s26, v4
	v_mul_hi_u32 v7, v4, v7
	v_add_u32_e32 v4, v4, v7
	v_mul_hi_u32 v4, v5, v4
	v_mul_lo_u32 v7, v4, s24
	v_add_u32_e32 v8, 1, v4
	v_sub_u32_e32 v7, v5, v7
	v_subrev_u32_e32 v9, s24, v7
	v_cmp_le_u32_e32 vcc, s24, v7
	v_cndmask_b32_e32 v7, v7, v9, vcc
	v_cndmask_b32_e32 v4, v4, v8, vcc
	v_add_u32_e32 v8, 1, v4
	v_cmp_le_u32_e32 vcc, s24, v7
	v_cndmask_b32_e32 v66, v4, v8, vcc
.LBB0_6:                                ;   in Loop: Header=BB0_2 Depth=1
	s_or_b64 exec, exec, s[0:1]
	v_mul_lo_u32 v4, v67, s24
	v_mul_lo_u32 v9, v66, s25
	v_mad_u64_u32 v[7:8], s[0:1], v66, s24, 0
	s_load_dwordx2 s[0:1], s[6:7], 0x0
	s_load_dwordx2 s[24:25], s[2:3], 0x0
	v_add3_u32 v4, v8, v9, v4
	v_sub_co_u32_e32 v5, vcc, v5, v7
	v_subb_co_u32_e32 v4, vcc, v6, v4, vcc
	s_waitcnt lgkmcnt(0)
	v_mul_lo_u32 v6, s0, v4
	v_mul_lo_u32 v7, s1, v5
	v_mad_u64_u32 v[1:2], s[0:1], s0, v5, v[1:2]
	v_mul_lo_u32 v4, s24, v4
	v_mul_lo_u32 v8, s25, v5
	v_mad_u64_u32 v[64:65], s[0:1], s24, v5, v[64:65]
	s_add_u32 s22, s22, 1
	s_addc_u32 s23, s23, 0
	s_add_u32 s2, s2, 8
	v_add3_u32 v65, v8, v65, v4
	s_addc_u32 s3, s3, 0
	v_mov_b32_e32 v4, s14
	s_add_u32 s6, s6, 8
	v_mov_b32_e32 v5, s15
	s_addc_u32 s7, s7, 0
	v_cmp_ge_u64_e32 vcc, s[22:23], v[4:5]
	s_add_u32 s20, s20, 8
	v_add3_u32 v2, v7, v2, v6
	s_addc_u32 s21, s21, 0
	s_cbranch_vccnz .LBB0_9
; %bb.7:                                ;   in Loop: Header=BB0_2 Depth=1
	v_mov_b32_e32 v5, v66
	v_mov_b32_e32 v6, v67
	s_branch .LBB0_2
.LBB0_8:
	v_mov_b32_e32 v65, v2
	v_mov_b32_e32 v67, v6
	;; [unrolled: 1-line block ×4, first 2 shown]
.LBB0_9:
	s_load_dwordx2 s[2:3], s[4:5], 0x28
	s_lshl_b64 s[6:7], s[14:15], 3
	s_add_u32 s4, s18, s6
	s_addc_u32 s5, s19, s7
                                        ; implicit-def: $vgpr68
	s_waitcnt lgkmcnt(0)
	v_cmp_gt_u64_e64 s[0:1], s[2:3], v[66:67]
	v_cmp_le_u64_e32 vcc, s[2:3], v[66:67]
	s_and_saveexec_b64 s[2:3], vcc
	s_xor_b64 s[2:3], exec, s[2:3]
; %bb.10:
	s_mov_b32 s14, 0x1a41a42
	v_mul_hi_u32 v1, v0, s14
	v_mul_u32_u24_e32 v1, 0x9c, v1
	v_sub_u32_e32 v68, v0, v1
                                        ; implicit-def: $vgpr0
                                        ; implicit-def: $vgpr1_vgpr2
; %bb.11:
	s_or_saveexec_b64 s[2:3], s[2:3]
	s_load_dwordx2 s[4:5], s[4:5], 0x0
	s_xor_b64 exec, exec, s[2:3]
	s_cbranch_execz .LBB0_15
; %bb.12:
	s_add_u32 s6, s16, s6
	s_addc_u32 s7, s17, s7
	s_load_dwordx2 s[6:7], s[6:7], 0x0
	s_mov_b32 s14, 0x1a41a42
	v_mul_hi_u32 v5, v0, s14
	v_lshlrev_b64 v[1:2], 4, v[1:2]
	s_waitcnt lgkmcnt(0)
	v_mul_lo_u32 v6, s7, v66
	v_mul_lo_u32 v7, s6, v67
	v_mad_u64_u32 v[3:4], s[6:7], s6, v66, 0
	v_mul_u32_u24_e32 v5, 0x9c, v5
	v_sub_u32_e32 v68, v0, v5
	v_add3_u32 v4, v4, v7, v6
	v_lshlrev_b64 v[3:4], 4, v[3:4]
	v_mov_b32_e32 v0, s9
	v_add_co_u32_e32 v3, vcc, s8, v3
	v_addc_co_u32_e32 v0, vcc, v0, v4, vcc
	v_add_co_u32_e32 v1, vcc, v3, v1
	v_addc_co_u32_e32 v0, vcc, v0, v2, vcc
	v_lshlrev_b32_e32 v48, 4, v68
	v_add_co_u32_e32 v26, vcc, v1, v48
	v_addc_co_u32_e32 v27, vcc, 0, v0, vcc
	s_movk_i32 s6, 0x1000
	v_add_co_u32_e32 v18, vcc, s6, v26
	v_addc_co_u32_e32 v19, vcc, 0, v27, vcc
	s_movk_i32 s6, 0x2000
	;; [unrolled: 3-line block ×3, first 2 shown]
	v_add_co_u32_e32 v42, vcc, s6, v26
	s_movk_i32 s7, 0x4000
	v_addc_co_u32_e32 v43, vcc, 0, v27, vcc
	v_add_co_u32_e32 v44, vcc, s7, v26
	v_addc_co_u32_e32 v45, vcc, 0, v27, vcc
	v_add_co_u32_e32 v46, vcc, 0x5000, v26
	global_load_dwordx4 v[2:5], v[26:27], off
	global_load_dwordx4 v[6:9], v[26:27], off offset:2496
	global_load_dwordx4 v[10:13], v[18:19], off offset:896
	;; [unrolled: 1-line block ×3, first 2 shown]
	s_nop 0
	global_load_dwordx4 v[18:21], v[28:29], off offset:1792
	global_load_dwordx4 v[22:25], v[42:43], off offset:192
	v_addc_co_u32_e32 v47, vcc, 0, v27, vcc
	global_load_dwordx4 v[26:29], v[42:43], off offset:2688
	global_load_dwordx4 v[30:33], v[44:45], off offset:1088
	;; [unrolled: 1-line block ×4, first 2 shown]
	s_movk_i32 s6, 0x9b
	v_add_u32_e32 v42, 0, v48
	v_cmp_eq_u32_e32 vcc, s6, v68
	s_waitcnt vmcnt(9)
	ds_write_b128 v42, v[2:5]
	s_waitcnt vmcnt(8)
	ds_write_b128 v42, v[6:9] offset:2496
	s_waitcnt vmcnt(7)
	ds_write_b128 v42, v[10:13] offset:4992
	;; [unrolled: 2-line block ×9, first 2 shown]
	s_and_saveexec_b64 s[6:7], vcc
	s_cbranch_execz .LBB0_14
; %bb.13:
	v_add_co_u32_e32 v1, vcc, 0x6000, v1
	v_addc_co_u32_e32 v2, vcc, 0, v0, vcc
	global_load_dwordx4 v[0:3], v[1:2], off offset:384
	v_mov_b32_e32 v4, 0
	v_mov_b32_e32 v68, 0x9b
	s_waitcnt vmcnt(0)
	ds_write_b128 v4, v[0:3] offset:24960
.LBB0_14:
	s_or_b64 exec, exec, s[6:7]
.LBB0_15:
	s_or_b64 exec, exec, s[2:3]
	v_lshlrev_b32_e32 v0, 4, v68
	v_add_u32_e32 v171, 0, v0
	s_waitcnt lgkmcnt(0)
	s_barrier
	v_sub_u32_e32 v10, 0, v0
	ds_read_b64 v[6:7], v171
	ds_read_b64 v[8:9], v10 offset:24960
	s_add_u32 s6, s12, 0x60b0
	s_addc_u32 s7, s13, 0
	v_cmp_ne_u32_e32 vcc, 0, v68
                                        ; implicit-def: $vgpr4_vgpr5
	s_waitcnt lgkmcnt(0)
	v_add_f64 v[0:1], v[6:7], v[8:9]
	v_add_f64 v[2:3], v[6:7], -v[8:9]
	s_and_saveexec_b64 s[2:3], vcc
	s_xor_b64 s[2:3], exec, s[2:3]
	s_cbranch_execz .LBB0_17
; %bb.16:
	v_mov_b32_e32 v69, 0
	v_lshlrev_b64 v[0:1], 4, v[68:69]
	v_mov_b32_e32 v2, s7
	v_add_co_u32_e32 v0, vcc, s6, v0
	v_addc_co_u32_e32 v1, vcc, v2, v1, vcc
	global_load_dwordx4 v[2:5], v[0:1], off
	ds_read_b64 v[0:1], v10 offset:24968
	ds_read_b64 v[11:12], v171 offset:8
	v_add_f64 v[13:14], v[6:7], v[8:9]
	v_add_f64 v[8:9], v[6:7], -v[8:9]
	s_waitcnt lgkmcnt(0)
	v_add_f64 v[15:16], v[0:1], v[11:12]
	v_add_f64 v[0:1], v[11:12], -v[0:1]
	s_waitcnt vmcnt(0)
	v_fma_f64 v[6:7], -v[8:9], v[4:5], v[13:14]
	v_fma_f64 v[11:12], v[15:16], v[4:5], -v[0:1]
	v_fma_f64 v[13:14], v[8:9], v[4:5], v[13:14]
	v_fma_f64 v[17:18], v[15:16], v[4:5], v[0:1]
	;; [unrolled: 1-line block ×4, first 2 shown]
	v_fma_f64 v[0:1], -v[15:16], v[2:3], v[13:14]
	v_fma_f64 v[2:3], v[8:9], v[2:3], v[17:18]
	ds_write_b128 v10, v[4:7] offset:24960
	v_mov_b32_e32 v4, v68
	v_mov_b32_e32 v5, v69
.LBB0_17:
	s_andn2_saveexec_b64 s[2:3], s[2:3]
	s_cbranch_execz .LBB0_19
; %bb.18:
	v_mov_b32_e32 v8, 0
	ds_read_b128 v[4:7], v8 offset:12480
	s_waitcnt lgkmcnt(0)
	v_add_f64 v[11:12], v[4:5], v[4:5]
	v_mul_f64 v[13:14], v[6:7], -2.0
	v_mov_b32_e32 v4, 0
	v_mov_b32_e32 v5, 0
	ds_write_b128 v8, v[11:14] offset:12480
.LBB0_19:
	s_or_b64 exec, exec, s[2:3]
	v_lshlrev_b64 v[4:5], 4, v[4:5]
	v_mov_b32_e32 v6, s7
	v_add_co_u32_e32 v23, vcc, s6, v4
	v_addc_co_u32_e32 v24, vcc, v6, v5, vcc
	global_load_dwordx4 v[4:7], v[23:24], off offset:2496
	s_movk_i32 s2, 0x1000
	v_add_co_u32_e32 v8, vcc, s2, v23
	v_addc_co_u32_e32 v9, vcc, 0, v24, vcc
	global_load_dwordx4 v[11:14], v[8:9], off offset:896
	ds_write_b128 v171, v[0:3]
	ds_read_b128 v[0:3], v171 offset:2496
	ds_read_b128 v[15:18], v10 offset:22464
	global_load_dwordx4 v[19:22], v[8:9], off offset:3392
	s_movk_i32 s2, 0x2000
	s_mov_b32 s24, 0x66966769
	s_mov_b32 s25, 0xbfefc445
	s_waitcnt lgkmcnt(0)
	v_add_f64 v[8:9], v[0:1], v[15:16]
	v_add_f64 v[25:26], v[17:18], v[2:3]
	v_add_f64 v[15:16], v[0:1], -v[15:16]
	v_add_f64 v[0:1], v[2:3], -v[17:18]
	s_mov_b32 s6, 0x1ea71119
	s_mov_b32 s14, 0x2ef20147
	;; [unrolled: 1-line block ×26, first 2 shown]
	s_movk_i32 s33, 0x78
	s_waitcnt vmcnt(2)
	v_fma_f64 v[2:3], v[15:16], v[6:7], v[8:9]
	v_fma_f64 v[17:18], v[25:26], v[6:7], v[0:1]
	v_fma_f64 v[8:9], -v[15:16], v[6:7], v[8:9]
	v_fma_f64 v[27:28], v[25:26], v[6:7], -v[0:1]
	v_fma_f64 v[0:1], -v[25:26], v[4:5], v[2:3]
	v_fma_f64 v[2:3], v[15:16], v[4:5], v[17:18]
	v_fma_f64 v[6:7], v[25:26], v[4:5], v[8:9]
	;; [unrolled: 1-line block ×3, first 2 shown]
	ds_write_b128 v171, v[0:3] offset:2496
	ds_write_b128 v10, v[6:9] offset:22464
	v_add_co_u32_e32 v8, vcc, s2, v23
	v_addc_co_u32_e32 v9, vcc, 0, v24, vcc
	ds_read_b128 v[0:3], v171 offset:4992
	ds_read_b128 v[4:7], v10 offset:19968
	global_load_dwordx4 v[15:18], v[8:9], off offset:1792
	s_mov_b32 s2, 0x42a4c3d2
	s_mov_b32 s3, 0xbfea55e2
	v_cmp_gt_u32_e32 vcc, s33, v68
	s_waitcnt lgkmcnt(0)
	v_add_f64 v[8:9], v[0:1], v[4:5]
	v_add_f64 v[23:24], v[6:7], v[2:3]
	v_add_f64 v[25:26], v[0:1], -v[4:5]
	v_add_f64 v[0:1], v[2:3], -v[6:7]
	s_waitcnt vmcnt(2)
	v_fma_f64 v[2:3], v[25:26], v[13:14], v[8:9]
	v_fma_f64 v[4:5], v[23:24], v[13:14], v[0:1]
	v_fma_f64 v[6:7], -v[25:26], v[13:14], v[8:9]
	v_fma_f64 v[8:9], v[23:24], v[13:14], -v[0:1]
	v_fma_f64 v[0:1], -v[23:24], v[11:12], v[2:3]
	v_fma_f64 v[2:3], v[25:26], v[11:12], v[4:5]
	v_fma_f64 v[4:5], v[23:24], v[11:12], v[6:7]
	;; [unrolled: 1-line block ×3, first 2 shown]
	ds_write_b128 v171, v[0:3] offset:4992
	ds_write_b128 v10, v[4:7] offset:19968
	ds_read_b128 v[0:3], v171 offset:7488
	ds_read_b128 v[4:7], v10 offset:17472
	s_waitcnt lgkmcnt(0)
	v_add_f64 v[8:9], v[0:1], v[4:5]
	v_add_f64 v[11:12], v[6:7], v[2:3]
	v_add_f64 v[13:14], v[0:1], -v[4:5]
	v_add_f64 v[0:1], v[2:3], -v[6:7]
	s_waitcnt vmcnt(1)
	v_fma_f64 v[2:3], v[13:14], v[21:22], v[8:9]
	v_fma_f64 v[4:5], v[11:12], v[21:22], v[0:1]
	v_fma_f64 v[6:7], -v[13:14], v[21:22], v[8:9]
	v_fma_f64 v[8:9], v[11:12], v[21:22], -v[0:1]
	v_fma_f64 v[0:1], -v[11:12], v[19:20], v[2:3]
	v_fma_f64 v[2:3], v[13:14], v[19:20], v[4:5]
	v_fma_f64 v[4:5], v[11:12], v[19:20], v[6:7]
	;; [unrolled: 1-line block ×3, first 2 shown]
	ds_write_b128 v171, v[0:3] offset:7488
	ds_write_b128 v10, v[4:7] offset:17472
	ds_read_b128 v[0:3], v171 offset:9984
	ds_read_b128 v[4:7], v10 offset:14976
	s_waitcnt lgkmcnt(0)
	v_add_f64 v[8:9], v[0:1], v[4:5]
	v_add_f64 v[11:12], v[6:7], v[2:3]
	v_add_f64 v[13:14], v[0:1], -v[4:5]
	v_add_f64 v[0:1], v[2:3], -v[6:7]
	s_waitcnt vmcnt(0)
	v_fma_f64 v[2:3], v[13:14], v[17:18], v[8:9]
	v_fma_f64 v[4:5], v[11:12], v[17:18], v[0:1]
	v_fma_f64 v[6:7], -v[13:14], v[17:18], v[8:9]
	v_fma_f64 v[8:9], v[11:12], v[17:18], -v[0:1]
	v_fma_f64 v[0:1], -v[11:12], v[15:16], v[2:3]
	v_fma_f64 v[2:3], v[13:14], v[15:16], v[4:5]
	v_fma_f64 v[4:5], v[11:12], v[15:16], v[6:7]
	;; [unrolled: 1-line block ×3, first 2 shown]
	ds_write_b128 v171, v[0:3] offset:9984
	ds_write_b128 v10, v[4:7] offset:14976
	s_waitcnt lgkmcnt(0)
	s_barrier
	s_barrier
	ds_read_b128 v[8:11], v171 offset:23040
	ds_read_b128 v[56:59], v171 offset:1920
	ds_read_b128 v[24:27], v171
	ds_read_b128 v[52:55], v171 offset:3840
	ds_read_b128 v[48:51], v171 offset:5760
	;; [unrolled: 1-line block ×10, first 2 shown]
	s_waitcnt lgkmcnt(11)
	v_add_f64 v[97:98], v[58:59], -v[10:11]
	v_add_f64 v[93:94], v[56:57], -v[8:9]
	v_add_f64 v[85:86], v[56:57], v[8:9]
	s_waitcnt lgkmcnt(7)
	v_add_f64 v[91:92], v[54:55], -v[14:15]
	v_add_f64 v[123:124], v[58:59], v[10:11]
	v_add_f64 v[89:90], v[52:53], -v[12:13]
	v_add_f64 v[81:82], v[52:53], v[12:13]
	v_add_f64 v[121:122], v[54:55], v[14:15]
	v_mul_f64 v[137:138], v[97:98], s[2:3]
	v_mul_f64 v[143:144], v[93:94], s[2:3]
	;; [unrolled: 1-line block ×4, first 2 shown]
	s_waitcnt lgkmcnt(6)
	v_add_f64 v[95:96], v[50:51], -v[18:19]
	v_add_f64 v[87:88], v[48:49], -v[16:17]
	v_mul_f64 v[125:126], v[91:92], s[14:15]
	v_mul_f64 v[141:142], v[89:90], s[14:15]
	;; [unrolled: 1-line block ×4, first 2 shown]
	v_fma_f64 v[0:1], v[85:86], s[6:7], v[137:138]
	v_fma_f64 v[2:3], v[123:124], s[6:7], -v[143:144]
	v_fma_f64 v[4:5], v[85:86], s[28:29], v[163:164]
	v_fma_f64 v[6:7], v[123:124], s[28:29], -v[169:170]
	v_add_f64 v[79:80], v[48:49], v[16:17]
	v_add_f64 v[111:112], v[50:51], v[18:19]
	s_waitcnt lgkmcnt(3)
	v_add_f64 v[99:100], v[46:47], -v[22:23]
	v_add_f64 v[83:84], v[44:45], -v[20:21]
	v_mul_f64 v[119:120], v[95:96], s[18:19]
	v_mul_f64 v[129:130], v[87:88], s[18:19]
	v_mul_f64 v[153:154], v[95:96], s[38:39]
	v_mul_f64 v[165:166], v[87:88], s[38:39]
	v_fma_f64 v[60:61], v[81:82], s[8:9], v[125:126]
	v_fma_f64 v[62:63], v[121:122], s[8:9], -v[141:142]
	v_fma_f64 v[133:134], v[81:82], s[16:17], v[159:160]
	v_fma_f64 v[135:136], v[121:122], s[16:17], -v[167:168]
	v_add_f64 v[0:1], v[24:25], v[0:1]
	v_add_f64 v[2:3], v[26:27], v[2:3]
	v_add_f64 v[4:5], v[24:25], v[4:5]
	v_add_f64 v[6:7], v[26:27], v[6:7]
	v_add_f64 v[75:76], v[44:45], v[20:21]
	v_add_f64 v[109:110], v[46:47], v[22:23]
	s_waitcnt lgkmcnt(2)
	v_add_f64 v[101:102], v[42:43], -v[30:31]
	v_add_f64 v[77:78], v[40:41], -v[28:29]
	v_mul_f64 v[117:118], v[99:100], s[22:23]
	v_mul_f64 v[127:128], v[83:84], s[22:23]
	v_mul_f64 v[151:152], v[99:100], s[40:41]
	v_mul_f64 v[161:162], v[83:84], s[40:41]
	v_fma_f64 v[147:148], v[79:80], s[16:17], v[119:120]
	v_fma_f64 v[172:173], v[111:112], s[16:17], -v[129:130]
	v_fma_f64 v[174:175], v[79:80], s[8:9], v[153:154]
	v_fma_f64 v[176:177], v[111:112], s[8:9], -v[165:166]
	v_add_f64 v[0:1], v[60:61], v[0:1]
	v_add_f64 v[2:3], v[62:63], v[2:3]
	v_add_f64 v[4:5], v[133:134], v[4:5]
	v_add_f64 v[6:7], v[135:136], v[6:7]
	;; [unrolled: 17-line block ×3, first 2 shown]
	v_add_f64 v[69:70], v[36:37], v[32:33]
	v_add_f64 v[105:106], v[38:39], v[34:35]
	v_mul_f64 v[113:114], v[103:104], s[40:41]
	v_mul_f64 v[139:140], v[71:72], s[40:41]
	;; [unrolled: 1-line block ×4, first 2 shown]
	v_fma_f64 v[147:148], v[73:74], s[28:29], v[115:116]
	v_fma_f64 v[172:173], v[107:108], s[28:29], -v[131:132]
	v_fma_f64 v[174:175], v[73:74], s[6:7], v[149:150]
	v_fma_f64 v[176:177], v[107:108], s[6:7], -v[157:158]
	v_add_f64 v[0:1], v[60:61], v[0:1]
	v_add_f64 v[2:3], v[62:63], v[2:3]
	;; [unrolled: 1-line block ×4, first 2 shown]
	v_fma_f64 v[60:61], v[69:70], s[30:31], v[113:114]
	v_fma_f64 v[62:63], v[105:106], s[30:31], -v[139:140]
	v_fma_f64 v[133:134], v[69:70], s[20:21], v[145:146]
	v_fma_f64 v[135:136], v[105:106], s[20:21], -v[155:156]
	v_add_f64 v[0:1], v[147:148], v[0:1]
	v_add_f64 v[2:3], v[172:173], v[2:3]
	;; [unrolled: 1-line block ×4, first 2 shown]
	s_barrier
	v_add_f64 v[4:5], v[60:61], v[0:1]
	v_add_f64 v[6:7], v[62:63], v[2:3]
	;; [unrolled: 1-line block ×4, first 2 shown]
	s_and_saveexec_b64 s[36:37], vcc
	s_cbranch_execz .LBB0_21
; %bb.20:
	v_mul_f64 v[60:61], v[123:124], s[16:17]
	s_mov_b32 s43, 0x3fcea1e5
	s_mov_b32 s42, s18
	v_mul_f64 v[62:63], v[121:122], s[30:31]
	v_mul_f64 v[172:173], v[97:98], s[18:19]
	s_mov_b32 s45, 0xbfddbe06
	s_mov_b32 s44, s40
	v_mul_f64 v[176:177], v[111:112], s[20:21]
	v_fma_f64 v[174:175], v[93:94], s[42:43], v[60:61]
	v_mul_f64 v[178:179], v[91:92], s[40:41]
	v_mul_f64 v[216:217], v[109:110], s[6:7]
	v_fma_f64 v[182:183], v[89:90], s[44:45], v[62:63]
	v_fma_f64 v[180:181], v[85:86], s[16:17], v[172:173]
	v_mul_f64 v[218:219], v[95:96], s[34:35]
	s_mov_b32 s47, 0x3fea55e2
	v_fma_f64 v[222:223], v[87:88], s[22:23], v[176:177]
	v_add_f64 v[174:175], v[26:27], v[174:175]
	v_fma_f64 v[220:221], v[81:82], s[30:31], v[178:179]
	s_mov_b32 s46, s2
	v_fma_f64 v[60:61], v[93:94], s[18:19], v[60:61]
	v_add_f64 v[180:181], v[24:25], v[180:181]
	v_fma_f64 v[224:225], v[79:80], s[20:21], v[218:219]
	v_fma_f64 v[226:227], v[83:84], s[2:3], v[216:217]
	;; [unrolled: 1-line block ×3, first 2 shown]
	v_add_f64 v[174:175], v[182:183], v[174:175]
	v_mul_f64 v[182:183], v[99:100], s[46:47]
	v_fma_f64 v[176:177], v[87:88], s[34:35], v[176:177]
	v_add_f64 v[60:61], v[26:27], v[60:61]
	v_add_f64 v[180:181], v[220:221], v[180:181]
	v_mul_f64 v[220:221], v[107:108], s[8:9]
	v_fma_f64 v[216:217], v[83:84], s[46:47], v[216:217]
	v_fma_f64 v[172:173], v[85:86], s[16:17], -v[172:173]
	v_add_f64 v[174:175], v[222:223], v[174:175]
	v_mul_f64 v[222:223], v[101:102], s[14:15]
	v_fma_f64 v[228:229], v[75:76], s[6:7], v[182:183]
	v_add_f64 v[60:61], v[62:63], v[60:61]
	v_add_f64 v[180:181], v[224:225], v[180:181]
	v_mul_f64 v[224:225], v[105:106], s[28:29]
	v_fma_f64 v[230:231], v[77:78], s[38:39], v[220:221]
	v_fma_f64 v[178:179], v[81:82], s[30:31], -v[178:179]
	v_add_f64 v[174:175], v[226:227], v[174:175]
	v_mul_f64 v[226:227], v[103:104], s[26:27]
	v_fma_f64 v[232:233], v[73:74], s[8:9], v[222:223]
	v_add_f64 v[60:61], v[176:177], v[60:61]
	v_add_f64 v[62:63], v[228:229], v[180:181]
	v_fma_f64 v[180:181], v[71:72], s[24:25], v[224:225]
	v_add_f64 v[172:173], v[24:25], v[172:173]
	v_mul_f64 v[238:239], v[91:92], s[26:27]
	v_add_f64 v[174:175], v[230:231], v[174:175]
	v_fma_f64 v[234:235], v[69:70], s[28:29], v[226:227]
	v_fma_f64 v[218:219], v[79:80], s[20:21], -v[218:219]
	v_add_f64 v[216:217], v[216:217], v[60:61]
	v_add_f64 v[176:177], v[232:233], v[62:63]
	v_mul_f64 v[246:247], v[95:96], s[2:3]
	v_add_f64 v[172:173], v[178:179], v[172:173]
	v_fma_f64 v[178:179], v[81:82], s[28:29], v[238:239]
	v_add_f64 v[62:63], v[180:181], v[174:175]
	v_mul_f64 v[174:175], v[123:124], s[20:21]
	v_fma_f64 v[180:181], v[77:78], s[14:15], v[220:221]
	v_mul_f64 v[220:221], v[97:98], s[34:35]
	v_add_f64 v[60:61], v[234:235], v[176:177]
	v_fma_f64 v[176:177], v[71:72], s[26:27], v[224:225]
	v_mul_f64 v[224:225], v[121:122], s[28:29]
	v_mul_f64 v[244:245], v[109:110], s[16:17]
	v_fma_f64 v[182:183], v[75:76], s[6:7], -v[182:183]
	v_fma_f64 v[234:235], v[93:94], s[22:23], v[174:175]
	v_add_f64 v[180:181], v[180:181], v[216:217]
	v_fma_f64 v[240:241], v[85:86], s[20:21], v[220:221]
	v_mul_f64 v[216:217], v[111:112], s[6:7]
	v_add_f64 v[172:173], v[218:219], v[172:173]
	v_fma_f64 v[242:243], v[89:90], s[24:25], v[224:225]
	v_fma_f64 v[250:251], v[79:80], s[6:7], v[246:247]
	v_mul_f64 v[218:219], v[107:108], s[30:31]
	v_add_f64 v[234:235], v[26:27], v[234:235]
	v_fma_f64 v[222:223], v[73:74], s[8:9], -v[222:223]
	v_add_f64 v[240:241], v[24:25], v[240:241]
	v_fma_f64 v[248:249], v[87:88], s[46:47], v[216:217]
	v_add_f64 v[172:173], v[182:183], v[172:173]
	v_mul_f64 v[182:183], v[105:106], s[8:9]
	v_fma_f64 v[226:227], v[69:70], s[28:29], -v[226:227]
	v_fma_f64 v[220:221], v[85:86], s[20:21], -v[220:221]
	v_add_f64 v[234:235], v[242:243], v[234:235]
	v_mul_f64 v[242:243], v[99:100], s[42:43]
	v_add_f64 v[178:179], v[178:179], v[240:241]
	v_fma_f64 v[240:241], v[83:84], s[18:19], v[244:245]
	v_add_f64 v[172:173], v[222:223], v[172:173]
	v_fma_f64 v[222:223], v[93:94], s[34:35], v[174:175]
	v_add_f64 v[174:175], v[176:177], v[180:181]
	v_fma_f64 v[176:177], v[89:90], s[26:27], v[224:225]
	v_add_f64 v[234:235], v[248:249], v[234:235]
	v_mul_f64 v[248:249], v[101:102], s[40:41]
	v_fma_f64 v[252:253], v[75:76], s[16:17], v[242:243]
	v_add_f64 v[178:179], v[250:251], v[178:179]
	v_fma_f64 v[250:251], v[77:78], s[44:45], v[218:219]
	v_add_f64 v[180:181], v[26:27], v[222:223]
	v_add_f64 v[172:173], v[226:227], v[172:173]
	v_mul_f64 v[226:227], v[123:124], s[8:9]
	v_add_f64 v[234:235], v[240:241], v[234:235]
	v_mul_f64 v[240:241], v[103:104], s[14:15]
	v_fma_f64 v[254:255], v[73:74], s[30:31], v[248:249]
	v_add_f64 v[178:179], v[252:253], v[178:179]
	v_fma_f64 v[252:253], v[71:72], s[38:39], v[182:183]
	v_mul_f64 v[190:191], v[123:124], s[28:29]
	v_fma_f64 v[216:217], v[87:88], s[2:3], v[216:217]
	v_add_f64 v[180:181], v[176:177], v[180:181]
	v_add_f64 v[234:235], v[250:251], v[234:235]
	v_fma_f64 v[222:223], v[69:70], s[8:9], v[240:241]
	v_add_f64 v[220:221], v[24:25], v[220:221]
	v_add_f64 v[224:225], v[254:255], v[178:179]
	v_mul_f64 v[198:199], v[121:122], s[16:17]
	v_add_f64 v[169:170], v[169:170], v[190:191]
	v_mul_f64 v[188:189], v[85:86], s[28:29]
	v_add_f64 v[180:181], v[216:217], v[180:181]
	v_add_f64 v[178:179], v[252:253], v[234:235]
	v_fma_f64 v[234:235], v[81:82], s[28:29], -v[238:239]
	v_fma_f64 v[238:239], v[93:94], s[38:39], v[226:227]
	v_add_f64 v[176:177], v[222:223], v[224:225]
	v_mul_f64 v[224:225], v[121:122], s[20:21]
	v_fma_f64 v[222:223], v[83:84], s[42:43], v[244:245]
	v_fma_f64 v[216:217], v[79:80], s[6:7], -v[246:247]
	v_mul_f64 v[244:245], v[97:98], s[14:15]
	v_fma_f64 v[226:227], v[93:94], s[14:15], v[226:227]
	v_add_f64 v[220:221], v[234:235], v[220:221]
	v_mul_f64 v[234:235], v[111:112], s[30:31]
	v_add_f64 v[238:239], v[26:27], v[238:239]
	v_fma_f64 v[246:247], v[89:90], s[34:35], v[224:225]
	v_mul_f64 v[204:205], v[111:112], s[8:9]
	v_fma_f64 v[218:219], v[77:78], s[40:41], v[218:219]
	v_add_f64 v[180:181], v[222:223], v[180:181]
	v_fma_f64 v[222:223], v[75:76], s[16:17], -v[242:243]
	v_add_f64 v[216:217], v[216:217], v[220:221]
	v_mul_f64 v[220:221], v[109:110], s[28:29]
	v_mul_f64 v[242:243], v[91:92], s[22:23]
	v_fma_f64 v[250:251], v[85:86], s[8:9], v[244:245]
	v_fma_f64 v[252:253], v[87:88], s[44:45], v[234:235]
	v_add_f64 v[238:239], v[246:247], v[238:239]
	v_fma_f64 v[224:225], v[89:90], s[22:23], v[224:225]
	v_add_f64 v[226:227], v[26:27], v[226:227]
	v_fma_f64 v[244:245], v[85:86], s[8:9], -v[244:245]
	v_add_f64 v[167:168], v[167:168], v[198:199]
	v_add_f64 v[169:170], v[26:27], v[169:170]
	;; [unrolled: 1-line block ×4, first 2 shown]
	v_mul_f64 v[196:197], v[81:82], s[16:17]
	v_mul_f64 v[210:211], v[109:110], s[30:31]
	v_add_f64 v[180:181], v[218:219], v[180:181]
	v_fma_f64 v[218:219], v[73:74], s[30:31], -v[248:249]
	v_add_f64 v[216:217], v[222:223], v[216:217]
	v_mul_f64 v[222:223], v[95:96], s[40:41]
	v_fma_f64 v[246:247], v[81:82], s[20:21], v[242:243]
	v_add_f64 v[248:249], v[24:25], v[250:251]
	v_fma_f64 v[250:251], v[83:84], s[26:27], v[220:221]
	v_add_f64 v[238:239], v[252:253], v[238:239]
	v_mul_f64 v[252:253], v[107:108], s[16:17]
	v_add_f64 v[224:225], v[224:225], v[226:227]
	v_fma_f64 v[242:243], v[81:82], s[20:21], -v[242:243]
	v_add_f64 v[244:245], v[24:25], v[244:245]
	v_fma_f64 v[234:235], v[87:88], s[40:41], v[234:235]
	v_add_f64 v[163:164], v[188:189], -v[163:164]
	v_add_f64 v[165:166], v[165:166], v[204:205]
	v_add_f64 v[167:168], v[167:168], v[169:170]
	;; [unrolled: 1-line block ×4, first 2 shown]
	v_mul_f64 v[202:203], v[79:80], s[8:9]
	v_mul_f64 v[228:229], v[107:108], s[6:7]
	v_add_f64 v[216:217], v[218:219], v[216:217]
	v_fma_f64 v[218:219], v[79:80], s[30:31], v[222:223]
	v_add_f64 v[246:247], v[246:247], v[248:249]
	v_mul_f64 v[248:249], v[99:100], s[24:25]
	v_add_f64 v[238:239], v[250:251], v[238:239]
	v_fma_f64 v[250:251], v[77:78], s[18:19], v[252:253]
	v_fma_f64 v[222:223], v[79:80], s[30:31], -v[222:223]
	v_add_f64 v[188:189], v[242:243], v[244:245]
	v_fma_f64 v[169:170], v[83:84], s[24:25], v[220:221]
	v_add_f64 v[204:205], v[234:235], v[224:225]
	v_add_f64 v[159:160], v[196:197], -v[159:160]
	v_add_f64 v[163:164], v[24:25], v[163:164]
	v_add_f64 v[161:162], v[161:162], v[210:211]
	;; [unrolled: 1-line block ×5, first 2 shown]
	v_mul_f64 v[186:187], v[123:124], s[6:7]
	v_mul_f64 v[208:209], v[75:76], s[30:31]
	v_add_f64 v[238:239], v[250:251], v[238:239]
	v_mul_f64 v[250:251], v[105:106], s[20:21]
	v_mul_f64 v[190:191], v[103:104], s[46:47]
	v_fma_f64 v[220:221], v[75:76], s[28:29], -v[248:249]
	v_add_f64 v[188:189], v[222:223], v[188:189]
	v_fma_f64 v[167:168], v[77:78], s[42:43], v[252:253]
	v_add_f64 v[169:170], v[169:170], v[204:205]
	v_add_f64 v[153:154], v[202:203], -v[153:154]
	v_add_f64 v[159:160], v[159:160], v[163:164]
	v_add_f64 v[157:158], v[157:158], v[228:229]
	;; [unrolled: 1-line block ×5, first 2 shown]
	v_mul_f64 v[184:185], v[85:86], s[6:7]
	v_mul_f64 v[194:195], v[121:122], s[8:9]
	;; [unrolled: 1-line block ×3, first 2 shown]
	v_fma_f64 v[198:199], v[69:70], s[6:7], v[190:191]
	v_add_f64 v[163:164], v[220:221], v[188:189]
	v_add_f64 v[167:168], v[167:168], v[169:170]
	v_fma_f64 v[169:170], v[69:70], s[6:7], -v[190:191]
	v_add_f64 v[188:189], v[208:209], -v[151:152]
	v_add_f64 v[159:160], v[153:154], v[159:160]
	v_add_f64 v[190:191], v[155:156], v[250:251]
	;; [unrolled: 1-line block ×6, first 2 shown]
	v_mul_f64 v[192:193], v[81:82], s[8:9]
	v_mul_f64 v[200:201], v[111:112], s[16:17]
	v_add_f64 v[149:150], v[214:215], -v[149:150]
	v_add_f64 v[159:160], v[188:189], v[159:160]
	v_add_f64 v[143:144], v[190:191], v[161:162]
	;; [unrolled: 1-line block ×4, first 2 shown]
	v_add_f64 v[137:138], v[184:185], -v[137:138]
	v_mul_f64 v[123:124], v[123:124], s[30:31]
	v_mul_f64 v[46:47], v[97:98], s[44:45]
	v_add_f64 v[38:39], v[42:43], v[38:39]
	v_add_f64 v[36:37], v[40:41], v[36:37]
	v_mul_f64 v[135:136], v[79:80], s[16:17]
	v_mul_f64 v[206:207], v[109:110], s[20:21]
	v_add_f64 v[149:150], v[149:150], v[159:160]
	v_add_f64 v[129:130], v[129:130], v[200:201]
	;; [unrolled: 1-line block ×3, first 2 shown]
	v_add_f64 v[125:126], v[192:193], -v[125:126]
	v_add_f64 v[137:138], v[24:25], v[137:138]
	v_mul_f64 v[121:122], v[121:122], s[6:7]
	v_fma_f64 v[159:160], v[93:94], s[40:41], v[123:124]
	v_fma_f64 v[93:94], v[93:94], s[44:45], v[123:124]
	v_mul_f64 v[91:92], v[91:92], s[2:3]
	v_fma_f64 v[40:41], v[85:86], s[30:31], -v[46:47]
	v_fma_f64 v[46:47], v[85:86], s[30:31], v[46:47]
	v_add_f64 v[34:35], v[38:39], v[34:35]
	v_add_f64 v[32:33], v[36:37], v[32:33]
	v_mul_f64 v[133:134], v[75:76], s[20:21]
	v_mul_f64 v[212:213], v[107:108], s[28:29]
	v_add_f64 v[127:128], v[127:128], v[206:207]
	v_add_f64 v[129:130], v[129:130], v[141:142]
	v_add_f64 v[119:120], v[135:136], -v[119:120]
	v_add_f64 v[125:126], v[125:126], v[137:138]
	v_mul_f64 v[111:112], v[111:112], s[28:29]
	v_fma_f64 v[135:136], v[89:90], s[46:47], v[121:122]
	v_add_f64 v[137:138], v[26:27], v[159:160]
	v_mul_f64 v[42:43], v[95:96], s[24:25]
	v_fma_f64 v[85:86], v[89:90], s[2:3], v[121:122]
	v_add_f64 v[26:27], v[26:27], v[93:94]
	v_fma_f64 v[89:90], v[81:82], s[6:7], -v[91:92]
	v_add_f64 v[36:37], v[24:25], v[40:41]
	v_fma_f64 v[38:39], v[81:82], s[6:7], v[91:92]
	v_add_f64 v[24:25], v[24:25], v[46:47]
	v_add_f64 v[30:31], v[34:35], v[30:31]
	;; [unrolled: 1-line block ×3, first 2 shown]
	v_mul_f64 v[147:148], v[73:74], s[28:29]
	v_mul_f64 v[232:233], v[105:106], s[30:31]
	v_add_f64 v[131:132], v[131:132], v[212:213]
	v_add_f64 v[56:57], v[127:128], v[129:130]
	v_add_f64 v[58:59], v[133:134], -v[117:118]
	v_add_f64 v[117:118], v[119:120], v[125:126]
	v_mul_f64 v[109:110], v[109:110], s[8:9]
	v_mul_f64 v[99:100], v[99:100], s[14:15]
	v_fma_f64 v[40:41], v[87:88], s[24:25], v[111:112]
	v_add_f64 v[26:27], v[85:86], v[26:27]
	v_fma_f64 v[46:47], v[79:80], s[28:29], -v[42:43]
	v_add_f64 v[32:33], v[89:90], v[36:37]
	v_fma_f64 v[182:183], v[71:72], s[14:15], v[182:183]
	v_fma_f64 v[240:241], v[69:70], s[8:9], -v[240:241]
	v_fma_f64 v[119:120], v[87:88], s[26:27], v[111:112]
	v_add_f64 v[125:126], v[135:136], v[137:138]
	v_fma_f64 v[34:35], v[79:80], s[28:29], v[42:43]
	v_add_f64 v[24:25], v[38:39], v[24:25]
	v_add_f64 v[22:23], v[30:31], v[22:23]
	;; [unrolled: 1-line block ×5, first 2 shown]
	v_add_f64 v[54:55], v[147:148], -v[115:116]
	v_add_f64 v[56:57], v[58:59], v[117:118]
	v_mul_f64 v[58:59], v[107:108], s[20:21]
	v_mul_f64 v[97:98], v[101:102], s[34:35]
	v_fma_f64 v[36:37], v[83:84], s[14:15], v[109:110]
	v_add_f64 v[26:27], v[40:41], v[26:27]
	v_fma_f64 v[38:39], v[75:76], s[8:9], -v[99:100]
	v_add_f64 v[28:29], v[46:47], v[32:33]
	v_add_f64 v[182:183], v[182:183], v[180:181]
	;; [unrolled: 1-line block ×3, first 2 shown]
	v_mul_f64 v[240:241], v[101:102], s[42:43]
	v_add_f64 v[218:219], v[218:219], v[246:247]
	v_fma_f64 v[246:247], v[75:76], s[28:29], v[248:249]
	v_fma_f64 v[107:108], v[83:84], s[38:39], v[109:110]
	v_add_f64 v[115:116], v[119:120], v[125:126]
	v_fma_f64 v[30:31], v[75:76], s[8:9], v[99:100]
	v_add_f64 v[24:25], v[34:35], v[24:25]
	v_add_f64 v[18:19], v[22:23], v[18:19]
	;; [unrolled: 1-line block ×5, first 2 shown]
	v_mul_f64 v[54:55], v[105:106], s[16:17]
	v_mul_f64 v[48:49], v[103:104], s[18:19]
	v_fma_f64 v[32:33], v[77:78], s[34:35], v[58:59]
	v_add_f64 v[26:27], v[36:37], v[26:27]
	v_fma_f64 v[34:35], v[73:74], s[20:21], -v[97:98]
	v_add_f64 v[20:21], v[38:39], v[28:29]
	v_mul_f64 v[230:231], v[69:70], s[30:31]
	v_mul_f64 v[236:237], v[69:70], s[20:21]
	;; [unrolled: 1-line block ×3, first 2 shown]
	v_fma_f64 v[196:197], v[73:74], s[16:17], -v[240:241]
	v_add_f64 v[218:219], v[246:247], v[218:219]
	v_fma_f64 v[246:247], v[73:74], s[16:17], v[240:241]
	v_fma_f64 v[56:57], v[77:78], s[22:23], v[58:59]
	v_add_f64 v[105:106], v[107:108], v[115:116]
	v_fma_f64 v[22:23], v[73:74], s[20:21], v[97:98]
	v_add_f64 v[24:25], v[30:31], v[24:25]
	v_add_f64 v[14:15], v[18:19], v[14:15]
	;; [unrolled: 1-line block ×3, first 2 shown]
	v_fma_f64 v[28:29], v[71:72], s[18:19], v[54:55]
	v_add_f64 v[26:27], v[32:33], v[26:27]
	v_fma_f64 v[30:31], v[69:70], s[16:17], -v[48:49]
	v_add_f64 v[20:21], v[34:35], v[20:21]
	v_add_f64 v[50:51], v[230:231], -v[113:114]
	v_add_f64 v[145:146], v[236:237], -v[145:146]
	v_fma_f64 v[165:166], v[71:72], s[46:47], v[216:217]
	v_add_f64 v[163:164], v[196:197], v[163:164]
	v_fma_f64 v[226:227], v[71:72], s[2:3], v[216:217]
	v_add_f64 v[218:219], v[246:247], v[218:219]
	;; [unrolled: 2-line block ×4, first 2 shown]
	v_add_f64 v[16:17], v[14:15], v[10:11]
	v_add_f64 v[14:15], v[18:19], v[8:9]
	;; [unrolled: 1-line block ×8, first 2 shown]
	s_movk_i32 s2, 0xc0
	v_mad_u32_u24 v8, v68, s2, v171
	v_add_f64 v[153:154], v[226:227], v[238:239]
	v_add_f64 v[151:152], v[198:199], v[218:219]
	;; [unrolled: 1-line block ×4, first 2 shown]
	ds_write_b128 v8, v[14:17]
	ds_write_b128 v8, v[10:13] offset:16
	ds_write_b128 v8, v[42:45] offset:32
	;; [unrolled: 1-line block ×12, first 2 shown]
.LBB0_21:
	s_or_b64 exec, exec, s[36:37]
	s_movk_i32 s2, 0x4f
	v_add_u32_e32 v52, 0x9c, v68
	v_mul_lo_u16_sdwa v8, v68, s2 dst_sel:DWORD dst_unused:UNUSED_PAD src0_sel:BYTE_0 src1_sel:DWORD
	s_movk_i32 s2, 0x4ec5
	v_add_u32_e32 v51, 0x138, v68
	v_lshrrev_b16_e32 v10, 10, v8
	v_mul_u32_u24_sdwa v49, v52, s2 dst_sel:DWORD dst_unused:UNUSED_PAD src0_sel:WORD_0 src1_sel:DWORD
	v_mul_lo_u16_e32 v11, 13, v10
	v_lshrrev_b32_e32 v61, 18, v49
	v_mul_u32_u24_sdwa v63, v51, s2 dst_sel:DWORD dst_unused:UNUSED_PAD src0_sel:WORD_0 src1_sel:DWORD
	v_add_u32_e32 v50, 0x1d4, v68
	v_sub_u16_e32 v11, v68, v11
	v_mov_b32_e32 v12, 4
	v_mul_lo_u16_e32 v13, 13, v61
	v_lshrrev_b32_e32 v85, 18, v63
	v_lshlrev_b32_sdwa v11, v12, v11 dst_sel:DWORD dst_unused:UNUSED_PAD src0_sel:DWORD src1_sel:BYTE_0
	v_sub_u16_e32 v13, v52, v13
	v_mul_lo_u16_e32 v21, 13, v85
	v_mul_u32_u24_sdwa v91, v50, s2 dst_sel:DWORD dst_unused:UNUSED_PAD src0_sel:WORD_0 src1_sel:DWORD
	v_add_u32_e32 v9, 0x270, v68
	s_waitcnt lgkmcnt(0)
	s_barrier
	v_lshlrev_b32_e32 v62, 4, v13
	global_load_dwordx4 v[13:16], v11, s[12:13]
	global_load_dwordx4 v[17:20], v62, s[12:13]
	v_sub_u16_e32 v21, v51, v21
	v_lshrrev_b32_e32 v87, 18, v91
	v_lshlrev_b32_e32 v86, 4, v21
	v_mul_lo_u16_e32 v21, 13, v87
	v_mul_u32_u24_sdwa v92, v9, s2 dst_sel:DWORD dst_unused:UNUSED_PAD src0_sel:WORD_0 src1_sel:DWORD
	v_sub_u16_e32 v21, v50, v21
	v_lshrrev_b32_e32 v89, 18, v92
	v_lshlrev_b32_e32 v88, 4, v21
	global_load_dwordx4 v[21:24], v86, s[12:13]
	global_load_dwordx4 v[25:28], v88, s[12:13]
	v_mul_lo_u16_e32 v29, 13, v89
	v_sub_u16_e32 v29, v9, v29
	v_lshlrev_b32_e32 v90, 4, v29
	global_load_dwordx4 v[29:32], v90, s[12:13]
	ds_read_b128 v[33:36], v171
	ds_read_b128 v[37:40], v171 offset:2496
	ds_read_b128 v[41:44], v171 offset:14976
	;; [unrolled: 1-line block ×9, first 2 shown]
	v_mul_u32_u24_e32 v10, 0x1a0, v10
	v_mul_u32_u24_e32 v61, 0x1a0, v61
	v_add3_u32 v95, 0, v10, v11
	v_add3_u32 v96, 0, v61, v62
	v_mul_u32_u24_e32 v85, 0x1a0, v85
	v_add3_u32 v97, 0, v85, v86
	v_mul_u32_u24_e32 v87, 0x1a0, v87
	;; [unrolled: 2-line block ×3, first 2 shown]
	v_add3_u32 v99, 0, v89, v90
	v_lshrrev_b16_e32 v93, 11, v8
	v_mul_lo_u16_e32 v94, 26, v93
	s_waitcnt vmcnt(0) lgkmcnt(0)
	s_barrier
	v_sub_u16_e32 v94, v68, v94
	s_mov_b32 s2, 0x134454ff
	s_mov_b32 s3, 0x3fee6f0e
	;; [unrolled: 1-line block ×12, first 2 shown]
	v_cmp_gt_u32_e32 vcc, 52, v68
	v_mul_f64 v[10:11], v[71:72], v[15:16]
	v_mul_f64 v[15:16], v[69:70], v[15:16]
	;; [unrolled: 1-line block ×4, first 2 shown]
	v_fma_f64 v[10:11], v[69:70], v[13:14], -v[10:11]
	v_mul_f64 v[85:86], v[47:48], v[23:24]
	v_mul_f64 v[23:24], v[45:46], v[23:24]
	;; [unrolled: 1-line block ×4, first 2 shown]
	v_fma_f64 v[15:16], v[71:72], v[13:14], v[15:16]
	v_mul_f64 v[89:90], v[83:84], v[31:32]
	v_mul_f64 v[31:32], v[81:82], v[31:32]
	v_fma_f64 v[41:42], v[41:42], v[17:18], -v[61:62]
	v_fma_f64 v[19:20], v[43:44], v[17:18], v[19:20]
	v_fma_f64 v[43:44], v[45:46], v[21:22], -v[85:86]
	v_fma_f64 v[23:24], v[47:48], v[21:22], v[23:24]
	;; [unrolled: 2-line block ×4, first 2 shown]
	v_add_f64 v[13:14], v[33:34], -v[10:11]
	v_add_f64 v[15:16], v[35:36], -v[15:16]
	;; [unrolled: 1-line block ×10, first 2 shown]
	v_fma_f64 v[33:34], v[33:34], 2.0, -v[13:14]
	v_fma_f64 v[35:36], v[35:36], 2.0, -v[15:16]
	;; [unrolled: 1-line block ×8, first 2 shown]
	v_lshrrev_b32_e32 v11, 19, v49
	v_fma_f64 v[53:54], v[73:74], 2.0, -v[29:30]
	v_fma_f64 v[55:56], v[75:76], 2.0, -v[31:32]
	ds_write_b128 v95, v[13:16] offset:208
	ds_write_b128 v95, v[33:36]
	ds_write_b128 v96, v[37:40]
	ds_write_b128 v96, v[17:20] offset:208
	ds_write_b128 v97, v[41:44]
	ds_write_b128 v97, v[21:24] offset:208
	ds_write_b128 v98, v[45:48]
	ds_write_b128 v98, v[25:28] offset:208
	ds_write_b128 v99, v[53:56]
	ds_write_b128 v99, v[29:32] offset:208
	v_mul_lo_u16_e32 v13, 26, v11
	v_sub_u16_e32 v13, v52, v13
	v_lshrrev_b32_e32 v14, 19, v63
	v_lshlrev_b32_sdwa v10, v12, v94 dst_sel:DWORD dst_unused:UNUSED_PAD src0_sel:DWORD src1_sel:BYTE_0
	v_lshlrev_b32_e32 v35, 4, v13
	v_mul_lo_u16_e32 v13, 26, v14
	s_waitcnt lgkmcnt(0)
	s_barrier
	global_load_dwordx4 v[15:18], v10, s[12:13] offset:208
	global_load_dwordx4 v[19:22], v35, s[12:13] offset:208
	v_sub_u16_e32 v13, v51, v13
	v_lshrrev_b32_e32 v37, 19, v91
	v_lshlrev_b32_e32 v36, 4, v13
	v_mul_lo_u16_e32 v13, 26, v37
	v_sub_u16_e32 v13, v50, v13
	v_lshrrev_b32_e32 v39, 19, v92
	v_lshlrev_b32_e32 v38, 4, v13
	global_load_dwordx4 v[23:26], v36, s[12:13] offset:208
	global_load_dwordx4 v[27:30], v38, s[12:13] offset:208
	v_mul_lo_u16_e32 v13, 26, v39
	v_sub_u16_e32 v9, v9, v13
	v_lshlrev_b32_e32 v9, 4, v9
	global_load_dwordx4 v[31:34], v9, s[12:13] offset:208
	v_lshrrev_b16_e32 v13, 12, v8
	v_mul_u32_u24_e32 v41, 0x340, v14
	v_mul_lo_u16_e32 v14, 52, v13
	v_mov_b32_e32 v40, 9
	v_sub_u16_e32 v14, v68, v14
	v_mul_u32_u24_e32 v8, 0x340, v93
	v_mul_u32_u24_e32 v11, 0x340, v11
	v_mul_u32_u24_e32 v37, 0x340, v37
	v_mul_u32_u24_e32 v39, 0x340, v39
	v_mul_u32_u24_sdwa v40, v14, v40 dst_sel:DWORD dst_unused:UNUSED_PAD src0_sel:BYTE_0 src1_sel:DWORD
	v_add3_u32 v49, 0, v8, v10
	v_add3_u32 v63, 0, v11, v35
	;; [unrolled: 1-line block ×5, first 2 shown]
	v_lshlrev_b32_e32 v94, 4, v40
	ds_read_b128 v[8:11], v171
	ds_read_b128 v[35:38], v171 offset:2496
	ds_read_b128 v[39:42], v171 offset:14976
	;; [unrolled: 1-line block ×9, first 2 shown]
	s_waitcnt vmcnt(0) lgkmcnt(0)
	s_barrier
	v_mul_u32_u24_e32 v13, 0x2080, v13
	v_lshlrev_b32_sdwa v12, v12, v14 dst_sel:DWORD dst_unused:UNUSED_PAD src0_sel:DWORD src1_sel:BYTE_0
	v_add3_u32 v12, 0, v13, v12
	v_mul_f64 v[47:48], v[71:72], v[17:18]
	v_mul_f64 v[17:18], v[69:70], v[17:18]
	;; [unrolled: 1-line block ×8, first 2 shown]
	v_fma_f64 v[47:48], v[69:70], v[15:16], -v[47:48]
	v_mul_f64 v[89:90], v[83:84], v[33:34]
	v_mul_f64 v[33:34], v[81:82], v[33:34]
	v_fma_f64 v[17:18], v[71:72], v[15:16], v[17:18]
	v_fma_f64 v[39:40], v[39:40], v[19:20], -v[61:62]
	v_fma_f64 v[21:22], v[41:42], v[19:20], v[21:22]
	v_fma_f64 v[41:42], v[43:44], v[23:24], -v[85:86]
	;; [unrolled: 2-line block ×4, first 2 shown]
	v_fma_f64 v[33:34], v[83:84], v[31:32], v[33:34]
	v_add_f64 v[15:16], v[8:9], -v[47:48]
	v_add_f64 v[17:18], v[10:11], -v[17:18]
	;; [unrolled: 1-line block ×10, first 2 shown]
	v_fma_f64 v[8:9], v[8:9], 2.0, -v[15:16]
	v_fma_f64 v[10:11], v[10:11], 2.0, -v[17:18]
	;; [unrolled: 1-line block ×10, first 2 shown]
	ds_write_b128 v49, v[15:18] offset:416
	ds_write_b128 v49, v[8:11]
	ds_write_b128 v63, v[35:38]
	ds_write_b128 v63, v[19:22] offset:416
	ds_write_b128 v91, v[39:42]
	ds_write_b128 v91, v[23:26] offset:416
	;; [unrolled: 2-line block ×4, first 2 shown]
	s_waitcnt lgkmcnt(0)
	s_barrier
	global_load_dwordx4 v[8:11], v94, s[12:13] offset:624
	global_load_dwordx4 v[15:18], v94, s[12:13] offset:640
	;; [unrolled: 1-line block ×9, first 2 shown]
	ds_read_b128 v[53:56], v171
	ds_read_b128 v[57:60], v171 offset:2496
	ds_read_b128 v[69:72], v171 offset:4992
	;; [unrolled: 1-line block ×9, first 2 shown]
	s_waitcnt vmcnt(0) lgkmcnt(0)
	s_barrier
	v_mul_f64 v[47:48], v[59:60], v[10:11]
	v_mul_f64 v[10:11], v[57:58], v[10:11]
	;; [unrolled: 1-line block ×18, first 2 shown]
	v_fma_f64 v[47:48], v[57:58], v[8:9], -v[47:48]
	v_fma_f64 v[8:9], v[59:60], v[8:9], v[10:11]
	v_fma_f64 v[10:11], v[69:70], v[15:16], -v[61:62]
	v_fma_f64 v[15:16], v[71:72], v[15:16], v[17:18]
	;; [unrolled: 2-line block ×6, first 2 shown]
	v_fma_f64 v[33:34], v[95:96], v[39:40], v[41:42]
	v_fma_f64 v[41:42], v[89:90], v[35:36], -v[109:110]
	v_fma_f64 v[35:36], v[91:92], v[35:36], v[37:38]
	v_fma_f64 v[37:38], v[93:94], v[39:40], -v[111:112]
	v_fma_f64 v[39:40], v[97:98], v[43:44], -v[113:114]
	v_fma_f64 v[43:44], v[99:100], v[43:44], v[45:46]
	v_add_f64 v[45:46], v[53:54], v[10:11]
	v_add_f64 v[57:58], v[21:22], v[29:30]
	v_add_f64 v[69:70], v[10:11], -v[21:22]
	v_add_f64 v[79:80], v[55:56], v[15:16]
	v_add_f64 v[81:82], v[23:24], v[31:32]
	v_add_f64 v[71:72], v[37:38], -v[29:30]
	;; [unrolled: 3-line block ×3, first 2 shown]
	v_add_f64 v[61:62], v[23:24], -v[31:32]
	v_add_f64 v[75:76], v[21:22], -v[10:11]
	;; [unrolled: 1-line block ×8, first 2 shown]
	v_add_f64 v[95:96], v[25:26], v[41:42]
	v_add_f64 v[21:22], v[45:46], v[21:22]
	v_fma_f64 v[45:46], v[57:58], -0.5, v[53:54]
	v_add_f64 v[57:58], v[69:70], v[71:72]
	v_fma_f64 v[53:54], v[73:74], -0.5, v[53:54]
	;; [unrolled: 2-line block ×3, first 2 shown]
	v_fma_f64 v[55:56], v[89:90], -0.5, v[55:56]
	v_add_f64 v[91:92], v[31:32], -v[33:34]
	v_add_f64 v[93:94], v[47:48], v[17:18]
	v_add_f64 v[97:98], v[19:20], -v[43:44]
	v_add_f64 v[69:70], v[75:76], v[77:78]
	v_add_f64 v[73:74], v[85:86], v[87:88]
	v_fma_f64 v[77:78], v[95:96], -0.5, v[47:48]
	v_add_f64 v[21:22], v[21:22], v[29:30]
	v_fma_f64 v[29:30], v[59:60], s[2:3], v[45:46]
	v_fma_f64 v[45:46], v[59:60], s[14:15], v[45:46]
	;; [unrolled: 1-line block ×4, first 2 shown]
	v_add_f64 v[23:24], v[23:24], v[31:32]
	v_fma_f64 v[31:32], v[10:11], s[14:15], v[71:72]
	v_fma_f64 v[71:72], v[10:11], s[2:3], v[71:72]
	;; [unrolled: 1-line block ×4, first 2 shown]
	v_add_f64 v[99:100], v[27:28], -v[35:36]
	v_add_f64 v[101:102], v[17:18], -v[25:26]
	;; [unrolled: 1-line block ×3, first 2 shown]
	v_add_f64 v[107:108], v[27:28], v[35:36]
	v_add_f64 v[15:16], v[15:16], v[91:92]
	;; [unrolled: 1-line block ×3, first 2 shown]
	v_fma_f64 v[87:88], v[97:98], s[2:3], v[77:78]
	v_add_f64 v[37:38], v[21:22], v[37:38]
	v_fma_f64 v[21:22], v[61:62], s[6:7], v[29:30]
	v_fma_f64 v[29:30], v[61:62], s[16:17], v[45:46]
	;; [unrolled: 1-line block ×4, first 2 shown]
	v_add_f64 v[59:60], v[23:24], v[33:34]
	v_fma_f64 v[23:24], v[83:84], s[16:17], v[31:32]
	v_fma_f64 v[31:32], v[83:84], s[6:7], v[71:72]
	;; [unrolled: 1-line block ×4, first 2 shown]
	v_add_f64 v[79:80], v[101:102], v[103:104]
	v_add_f64 v[75:76], v[75:76], v[41:42]
	v_fma_f64 v[77:78], v[97:98], s[14:15], v[77:78]
	v_fma_f64 v[55:56], v[99:100], s[6:7], v[87:88]
	;; [unrolled: 1-line block ×10, first 2 shown]
	v_add_f64 v[15:16], v[19:20], v[43:44]
	v_fma_f64 v[29:30], v[107:108], -0.5, v[8:9]
	v_add_f64 v[31:32], v[17:18], -v[39:40]
	v_add_f64 v[105:106], v[17:18], v[39:40]
	v_add_f64 v[75:76], v[75:76], v[39:40]
	v_fma_f64 v[23:24], v[79:80], s[8:9], v[55:56]
	v_fma_f64 v[33:34], v[99:100], s[16:17], v[77:78]
	v_add_f64 v[55:56], v[8:9], v[19:20]
	v_add_f64 v[77:78], v[25:26], -v[41:42]
	v_fma_f64 v[8:9], v[15:16], -0.5, v[8:9]
	v_add_f64 v[15:16], v[25:26], -v[17:18]
	v_add_f64 v[17:18], v[41:42], -v[39:40]
	v_fma_f64 v[25:26], v[31:32], s[14:15], v[29:30]
	v_add_f64 v[39:40], v[19:20], -v[27:28]
	v_add_f64 v[41:42], v[43:44], -v[35:36]
	v_fma_f64 v[47:48], v[105:106], -0.5, v[47:48]
	v_add_f64 v[55:56], v[55:56], v[27:28]
	v_fma_f64 v[81:82], v[77:78], s[2:3], v[8:9]
	v_add_f64 v[19:20], v[27:28], -v[19:20]
	v_add_f64 v[27:28], v[35:36], -v[43:44]
	v_fma_f64 v[25:26], v[77:78], s[16:17], v[25:26]
	v_fma_f64 v[29:30], v[31:32], s[2:3], v[29:30]
	v_add_f64 v[39:40], v[39:40], v[41:42]
	v_fma_f64 v[21:22], v[99:100], s[14:15], v[47:48]
	v_fma_f64 v[47:48], v[99:100], s[2:3], v[47:48]
	;; [unrolled: 1-line block ×4, first 2 shown]
	v_add_f64 v[19:20], v[19:20], v[27:28]
	v_add_f64 v[27:28], v[55:56], v[35:36]
	v_fma_f64 v[29:30], v[77:78], s[6:7], v[29:30]
	v_fma_f64 v[25:26], v[39:40], s[8:9], v[25:26]
	;; [unrolled: 1-line block ×3, first 2 shown]
	v_add_f64 v[15:16], v[15:16], v[17:18]
	v_fma_f64 v[17:18], v[97:98], s[16:17], v[47:48]
	v_fma_f64 v[8:9], v[31:32], s[6:7], v[8:9]
	;; [unrolled: 1-line block ×4, first 2 shown]
	v_add_f64 v[41:42], v[27:28], v[43:44]
	v_fma_f64 v[27:28], v[39:40], s[8:9], v[29:30]
	v_mul_f64 v[29:30], v[25:26], s[6:7]
	v_fma_f64 v[21:22], v[15:16], s[8:9], v[21:22]
	v_fma_f64 v[17:18], v[15:16], s[8:9], v[17:18]
	;; [unrolled: 1-line block ×3, first 2 shown]
	v_mul_f64 v[39:40], v[31:32], s[18:19]
	v_mul_f64 v[19:20], v[33:34], s[2:3]
	v_add_f64 v[15:16], v[37:38], v[75:76]
	v_mul_f64 v[55:56], v[27:28], s[18:19]
	v_fma_f64 v[43:44], v[23:24], s[18:19], v[29:30]
	v_mul_f64 v[23:24], v[23:24], s[16:17]
	v_mul_f64 v[29:30], v[21:22], s[14:15]
	v_mul_f64 v[35:36], v[17:18], s[8:9]
	v_mul_f64 v[47:48], v[8:9], s[8:9]
	v_fma_f64 v[77:78], v[21:22], s[8:9], v[19:20]
	v_fma_f64 v[79:80], v[27:28], s[6:7], -v[39:40]
	v_fma_f64 v[85:86], v[31:32], s[16:17], -v[55:56]
	v_add_f64 v[19:20], v[61:62], v[43:44]
	v_fma_f64 v[81:82], v[25:26], s[18:19], v[23:24]
	v_fma_f64 v[83:84], v[33:34], s[8:9], v[29:30]
	v_fma_f64 v[8:9], v[8:9], s[2:3], -v[35:36]
	v_fma_f64 v[47:48], v[17:18], s[14:15], -v[47:48]
	v_add_f64 v[17:18], v[59:60], v[41:42]
	v_add_f64 v[23:24], v[45:46], v[77:78]
	;; [unrolled: 1-line block ×8, first 2 shown]
	v_add_f64 v[35:36], v[37:38], -v[75:76]
	v_add_f64 v[37:38], v[59:60], -v[41:42]
	;; [unrolled: 1-line block ×10, first 2 shown]
	ds_write_b128 v12, v[15:18]
	ds_write_b128 v12, v[19:22] offset:832
	ds_write_b128 v12, v[23:26] offset:1664
	;; [unrolled: 1-line block ×9, first 2 shown]
	s_waitcnt lgkmcnt(0)
	s_barrier
	ds_read_b128 v[16:19], v171
	ds_read_b128 v[12:15], v171 offset:2496
	ds_read_b128 v[32:35], v171 offset:16640
	ds_read_b128 v[24:27], v171 offset:19136
	ds_read_b128 v[44:47], v171 offset:8320
	ds_read_b128 v[20:23], v171 offset:4992
	ds_read_b128 v[40:43], v171 offset:10816
	ds_read_b128 v[36:39], v171 offset:13312
	ds_read_b128 v[28:31], v171 offset:21632
	s_and_saveexec_b64 s[2:3], vcc
	s_cbranch_execz .LBB0_23
; %bb.22:
	ds_read_b128 v[8:11], v171 offset:7488
	ds_read_b128 v[0:3], v171 offset:15808
	;; [unrolled: 1-line block ×3, first 2 shown]
.LBB0_23:
	s_or_b64 exec, exec, s[2:3]
	v_lshlrev_b32_e32 v48, 1, v68
	v_mov_b32_e32 v49, 0
	v_lshlrev_b64 v[53:54], 4, v[48:49]
	v_mov_b32_e32 v63, s13
	v_add_co_u32_e64 v48, s[2:3], s12, v53
	v_addc_co_u32_e64 v53, s[2:3], v63, v54, s[2:3]
	s_movk_i32 s6, 0x1fb0
	v_add_co_u32_e64 v61, s[2:3], s6, v48
	v_addc_co_u32_e64 v62, s[2:3], 0, v53, s[2:3]
	s_movk_i32 s14, 0x1000
	v_add_co_u32_e64 v69, s[2:3], s14, v48
	v_addc_co_u32_e64 v70, s[2:3], 0, v53, s[2:3]
	v_lshlrev_b32_e32 v48, 1, v52
	global_load_dwordx4 v[53:56], v[69:70], off offset:4016
	global_load_dwordx4 v[57:60], v[61:62], off offset:16
	v_lshlrev_b64 v[61:62], 4, v[48:49]
	s_mov_b32 s7, 0xbfebb67a
	v_add_co_u32_e64 v48, s[2:3], s12, v61
	v_addc_co_u32_e64 v52, s[2:3], v63, v62, s[2:3]
	v_add_co_u32_e64 v61, s[2:3], s6, v48
	v_addc_co_u32_e64 v62, s[2:3], 0, v52, s[2:3]
	v_add_co_u32_e64 v77, s[2:3], s14, v48
	v_lshlrev_b32_e32 v48, 1, v51
	v_addc_co_u32_e64 v78, s[2:3], 0, v52, s[2:3]
	v_lshlrev_b64 v[51:52], 4, v[48:49]
	global_load_dwordx4 v[69:72], v[77:78], off offset:4016
	global_load_dwordx4 v[73:76], v[61:62], off offset:16
	v_add_co_u32_e64 v48, s[2:3], s12, v51
	v_addc_co_u32_e64 v61, s[2:3], v63, v52, s[2:3]
	v_add_co_u32_e64 v51, s[2:3], s14, v48
	v_addc_co_u32_e64 v52, s[2:3], 0, v61, s[2:3]
	global_load_dwordx4 v[77:80], v[51:52], off offset:4016
	v_add_co_u32_e64 v51, s[2:3], s6, v48
	v_addc_co_u32_e64 v52, s[2:3], 0, v61, s[2:3]
	global_load_dwordx4 v[81:84], v[51:52], off offset:16
	s_mov_b32 s2, 0xe8584caa
	s_mov_b32 s3, 0x3febb67a
	;; [unrolled: 1-line block ×3, first 2 shown]
	s_waitcnt vmcnt(0) lgkmcnt(0)
	s_barrier
	v_mul_f64 v[51:52], v[46:47], v[55:56]
	v_mul_f64 v[55:56], v[44:45], v[55:56]
	;; [unrolled: 1-line block ×4, first 2 shown]
	v_fma_f64 v[44:45], v[44:45], v[53:54], -v[51:52]
	v_fma_f64 v[46:47], v[46:47], v[53:54], v[55:56]
	v_fma_f64 v[32:33], v[32:33], v[57:58], -v[61:62]
	v_fma_f64 v[34:35], v[34:35], v[57:58], v[59:60]
	v_mul_f64 v[85:86], v[42:43], v[71:72]
	v_mul_f64 v[71:72], v[40:41], v[71:72]
	;; [unrolled: 1-line block ×4, first 2 shown]
	v_add_f64 v[55:56], v[46:47], -v[34:35]
	v_add_f64 v[57:58], v[18:19], v[46:47]
	v_add_f64 v[46:47], v[46:47], v[34:35]
	v_fma_f64 v[40:41], v[40:41], v[69:70], -v[85:86]
	v_fma_f64 v[42:43], v[42:43], v[69:70], v[71:72]
	v_mul_f64 v[89:90], v[38:39], v[79:80]
	v_mul_f64 v[79:80], v[36:37], v[79:80]
	v_fma_f64 v[51:52], v[24:25], v[73:74], -v[87:88]
	v_fma_f64 v[53:54], v[26:27], v[73:74], v[75:76]
	v_mul_f64 v[91:92], v[30:31], v[83:84]
	v_mul_f64 v[83:84], v[28:29], v[83:84]
	v_add_f64 v[71:72], v[14:15], v[42:43]
	v_fma_f64 v[24:25], v[36:37], v[77:78], -v[89:90]
	v_fma_f64 v[26:27], v[38:39], v[77:78], v[79:80]
	v_add_f64 v[36:37], v[16:17], v[44:45]
	v_add_f64 v[38:39], v[44:45], v[32:33]
	v_add_f64 v[61:62], v[40:41], v[51:52]
	v_fma_f64 v[28:29], v[28:29], v[81:82], -v[91:92]
	v_fma_f64 v[30:31], v[30:31], v[81:82], v[83:84]
	v_add_f64 v[69:70], v[42:43], -v[53:54]
	v_add_f64 v[42:43], v[42:43], v[53:54]
	v_add_f64 v[44:45], v[44:45], -v[32:33]
	v_add_f64 v[73:74], v[20:21], v[24:25]
	v_add_f64 v[79:80], v[22:23], v[26:27]
	;; [unrolled: 1-line block ×5, first 2 shown]
	v_add_f64 v[77:78], v[26:27], -v[30:31]
	v_add_f64 v[83:84], v[24:25], -v[28:29]
	v_add_f64 v[24:25], v[36:37], v[32:33]
	v_fma_f64 v[32:33], v[38:39], -0.5, v[16:17]
	v_add_f64 v[26:27], v[57:58], v[34:35]
	v_fma_f64 v[34:35], v[46:47], -0.5, v[18:19]
	v_add_f64 v[40:41], v[40:41], -v[51:52]
	v_fma_f64 v[36:37], v[61:62], -0.5, v[12:13]
	v_fma_f64 v[38:39], v[42:43], -0.5, v[14:15]
	v_fma_f64 v[42:43], v[75:76], -0.5, v[20:21]
	v_fma_f64 v[46:47], v[81:82], -0.5, v[22:23]
	v_fma_f64 v[20:21], v[55:56], s[2:3], v[32:33]
	v_add_f64 v[12:13], v[73:74], v[28:29]
	v_fma_f64 v[22:23], v[44:45], s[6:7], v[34:35]
	v_add_f64 v[14:15], v[79:80], v[30:31]
	v_fma_f64 v[28:29], v[55:56], s[6:7], v[32:33]
	v_fma_f64 v[30:31], v[44:45], s[2:3], v[34:35]
	v_add_f64 v[16:17], v[59:60], v[51:52]
	v_add_f64 v[18:19], v[71:72], v[53:54]
	v_fma_f64 v[32:33], v[69:70], s[2:3], v[36:37]
	v_fma_f64 v[34:35], v[40:41], s[6:7], v[38:39]
	v_fma_f64 v[36:37], v[69:70], s[6:7], v[36:37]
	v_fma_f64 v[38:39], v[40:41], s[2:3], v[38:39]
	v_fma_f64 v[40:41], v[77:78], s[2:3], v[42:43]
	v_fma_f64 v[44:45], v[77:78], s[6:7], v[42:43]
	v_fma_f64 v[42:43], v[83:84], s[6:7], v[46:47]
	v_fma_f64 v[46:47], v[83:84], s[2:3], v[46:47]
	ds_write_b128 v171, v[24:27]
	ds_write_b128 v171, v[20:23] offset:8320
	ds_write_b128 v171, v[28:31] offset:16640
	;; [unrolled: 1-line block ×8, first 2 shown]
	s_and_saveexec_b64 s[8:9], vcc
	s_cbranch_execz .LBB0_25
; %bb.24:
	v_subrev_u32_e32 v12, 52, v68
	v_cndmask_b32_e32 v12, v12, v50, vcc
	v_lshlrev_b32_e32 v48, 1, v12
	v_lshlrev_b64 v[12:13], 4, v[48:49]
	v_mov_b32_e32 v14, s13
	v_add_co_u32_e32 v12, vcc, s12, v12
	v_addc_co_u32_e32 v13, vcc, v14, v13, vcc
	v_add_co_u32_e32 v20, vcc, 0x1fb0, v12
	v_addc_co_u32_e32 v21, vcc, 0, v13, vcc
	;; [unrolled: 2-line block ×3, first 2 shown]
	global_load_dwordx4 v[12:15], v[22:23], off offset:4016
	global_load_dwordx4 v[16:19], v[20:21], off offset:16
	s_waitcnt vmcnt(1)
	v_mul_f64 v[20:21], v[0:1], v[14:15]
	s_waitcnt vmcnt(0)
	v_mul_f64 v[22:23], v[4:5], v[18:19]
	v_mul_f64 v[14:15], v[2:3], v[14:15]
	;; [unrolled: 1-line block ×3, first 2 shown]
	v_fma_f64 v[2:3], v[2:3], v[12:13], v[20:21]
	v_fma_f64 v[6:7], v[6:7], v[16:17], v[22:23]
	v_fma_f64 v[0:1], v[0:1], v[12:13], -v[14:15]
	v_fma_f64 v[4:5], v[4:5], v[16:17], -v[18:19]
	v_add_f64 v[18:19], v[10:11], v[2:3]
	v_add_f64 v[12:13], v[2:3], v[6:7]
	;; [unrolled: 1-line block ×3, first 2 shown]
	v_add_f64 v[16:17], v[0:1], -v[4:5]
	v_add_f64 v[0:1], v[8:9], v[0:1]
	v_fma_f64 v[10:11], v[12:13], -0.5, v[10:11]
	v_add_f64 v[12:13], v[2:3], -v[6:7]
	v_fma_f64 v[14:15], v[14:15], -0.5, v[8:9]
	v_add_f64 v[2:3], v[18:19], v[6:7]
	v_add_f64 v[0:1], v[0:1], v[4:5]
	v_fma_f64 v[6:7], v[16:17], s[2:3], v[10:11]
	v_fma_f64 v[10:11], v[16:17], s[6:7], v[10:11]
	;; [unrolled: 1-line block ×4, first 2 shown]
	ds_write_b128 v171, v[0:3] offset:7488
	ds_write_b128 v171, v[8:11] offset:15808
	ds_write_b128 v171, v[4:7] offset:24128
.LBB0_25:
	s_or_b64 exec, exec, s[8:9]
	s_waitcnt lgkmcnt(0)
	s_barrier
	s_and_saveexec_b64 s[2:3], s[0:1]
	s_cbranch_execz .LBB0_27
; %bb.26:
	v_mul_lo_u32 v0, s5, v66
	v_mul_lo_u32 v1, s4, v67
	v_mad_u64_u32 v[4:5], s[0:1], s4, v66, 0
	v_mov_b32_e32 v6, s11
	v_lshl_add_u32 v10, v68, 4, 0
	v_add3_u32 v5, v5, v1, v0
	v_lshlrev_b64 v[4:5], 4, v[4:5]
	v_mov_b32_e32 v69, 0
	v_add_co_u32_e32 v7, vcc, s10, v4
	v_addc_co_u32_e32 v6, vcc, v6, v5, vcc
	v_lshlrev_b64 v[4:5], 4, v[64:65]
	ds_read_b128 v[0:3], v10
	v_add_co_u32_e32 v11, vcc, v7, v4
	v_addc_co_u32_e32 v12, vcc, v6, v5, vcc
	v_lshlrev_b64 v[4:5], 4, v[68:69]
	v_add_co_u32_e32 v8, vcc, v11, v4
	v_addc_co_u32_e32 v9, vcc, v12, v5, vcc
	ds_read_b128 v[4:7], v10 offset:2496
	s_waitcnt lgkmcnt(1)
	global_store_dwordx4 v[8:9], v[0:3], off
	s_nop 0
	v_add_u32_e32 v0, 0x9c, v68
	v_mov_b32_e32 v1, v69
	v_lshlrev_b64 v[0:1], 4, v[0:1]
	v_add_co_u32_e32 v0, vcc, v11, v0
	v_addc_co_u32_e32 v1, vcc, v12, v1, vcc
	s_waitcnt lgkmcnt(0)
	global_store_dwordx4 v[0:1], v[4:7], off
	ds_read_b128 v[0:3], v10 offset:4992
	v_add_u32_e32 v4, 0x138, v68
	v_mov_b32_e32 v5, v69
	v_lshlrev_b64 v[4:5], 4, v[4:5]
	v_add_co_u32_e32 v8, vcc, v11, v4
	v_addc_co_u32_e32 v9, vcc, v12, v5, vcc
	ds_read_b128 v[4:7], v10 offset:7488
	s_waitcnt lgkmcnt(1)
	global_store_dwordx4 v[8:9], v[0:3], off
	s_nop 0
	v_add_u32_e32 v0, 0x1d4, v68
	v_mov_b32_e32 v1, v69
	v_lshlrev_b64 v[0:1], 4, v[0:1]
	v_add_co_u32_e32 v0, vcc, v11, v0
	v_addc_co_u32_e32 v1, vcc, v12, v1, vcc
	s_waitcnt lgkmcnt(0)
	global_store_dwordx4 v[0:1], v[4:7], off
	ds_read_b128 v[0:3], v10 offset:9984
	v_add_u32_e32 v4, 0x270, v68
	v_mov_b32_e32 v5, v69
	v_lshlrev_b64 v[4:5], 4, v[4:5]
	v_add_co_u32_e32 v8, vcc, v11, v4
	v_addc_co_u32_e32 v9, vcc, v12, v5, vcc
	ds_read_b128 v[4:7], v10 offset:12480
	s_waitcnt lgkmcnt(1)
	global_store_dwordx4 v[8:9], v[0:3], off
	s_nop 0
	v_add_u32_e32 v0, 0x30c, v68
	v_mov_b32_e32 v1, v69
	v_lshlrev_b64 v[0:1], 4, v[0:1]
	v_add_co_u32_e32 v0, vcc, v11, v0
	v_addc_co_u32_e32 v1, vcc, v12, v1, vcc
	s_waitcnt lgkmcnt(0)
	global_store_dwordx4 v[0:1], v[4:7], off
	ds_read_b128 v[0:3], v10 offset:14976
	v_add_u32_e32 v4, 0x3a8, v68
	v_mov_b32_e32 v5, v69
	v_lshlrev_b64 v[4:5], 4, v[4:5]
	v_add_co_u32_e32 v8, vcc, v11, v4
	v_addc_co_u32_e32 v9, vcc, v12, v5, vcc
	ds_read_b128 v[4:7], v10 offset:17472
	s_waitcnt lgkmcnt(1)
	global_store_dwordx4 v[8:9], v[0:3], off
	s_nop 0
	v_add_u32_e32 v0, 0x444, v68
	v_mov_b32_e32 v1, v69
	v_lshlrev_b64 v[0:1], 4, v[0:1]
	v_add_co_u32_e32 v0, vcc, v11, v0
	v_addc_co_u32_e32 v1, vcc, v12, v1, vcc
	s_waitcnt lgkmcnt(0)
	global_store_dwordx4 v[0:1], v[4:7], off
	ds_read_b128 v[0:3], v10 offset:19968
	v_add_u32_e32 v4, 0x4e0, v68
	v_mov_b32_e32 v5, v69
	v_lshlrev_b64 v[4:5], 4, v[4:5]
	v_add_u32_e32 v68, 0x57c, v68
	v_add_co_u32_e32 v8, vcc, v11, v4
	v_addc_co_u32_e32 v9, vcc, v12, v5, vcc
	ds_read_b128 v[4:7], v10 offset:22464
	s_waitcnt lgkmcnt(1)
	global_store_dwordx4 v[8:9], v[0:3], off
	s_nop 0
	v_lshlrev_b64 v[0:1], 4, v[68:69]
	v_add_co_u32_e32 v0, vcc, v11, v0
	v_addc_co_u32_e32 v1, vcc, v12, v1, vcc
	s_waitcnt lgkmcnt(0)
	global_store_dwordx4 v[0:1], v[4:7], off
.LBB0_27:
	s_endpgm
	.section	.rodata,"a",@progbits
	.p2align	6, 0x0
	.amdhsa_kernel fft_rtc_fwd_len1560_factors_13_2_2_10_3_wgs_156_tpt_156_dp_op_CI_CI_unitstride_sbrr_C2R_dirReg
		.amdhsa_group_segment_fixed_size 0
		.amdhsa_private_segment_fixed_size 0
		.amdhsa_kernarg_size 104
		.amdhsa_user_sgpr_count 6
		.amdhsa_user_sgpr_private_segment_buffer 1
		.amdhsa_user_sgpr_dispatch_ptr 0
		.amdhsa_user_sgpr_queue_ptr 0
		.amdhsa_user_sgpr_kernarg_segment_ptr 1
		.amdhsa_user_sgpr_dispatch_id 0
		.amdhsa_user_sgpr_flat_scratch_init 0
		.amdhsa_user_sgpr_private_segment_size 0
		.amdhsa_uses_dynamic_stack 0
		.amdhsa_system_sgpr_private_segment_wavefront_offset 0
		.amdhsa_system_sgpr_workgroup_id_x 1
		.amdhsa_system_sgpr_workgroup_id_y 0
		.amdhsa_system_sgpr_workgroup_id_z 0
		.amdhsa_system_sgpr_workgroup_info 0
		.amdhsa_system_vgpr_workitem_id 0
		.amdhsa_next_free_vgpr 256
		.amdhsa_next_free_sgpr 48
		.amdhsa_reserve_vcc 1
		.amdhsa_reserve_flat_scratch 0
		.amdhsa_float_round_mode_32 0
		.amdhsa_float_round_mode_16_64 0
		.amdhsa_float_denorm_mode_32 3
		.amdhsa_float_denorm_mode_16_64 3
		.amdhsa_dx10_clamp 1
		.amdhsa_ieee_mode 1
		.amdhsa_fp16_overflow 0
		.amdhsa_exception_fp_ieee_invalid_op 0
		.amdhsa_exception_fp_denorm_src 0
		.amdhsa_exception_fp_ieee_div_zero 0
		.amdhsa_exception_fp_ieee_overflow 0
		.amdhsa_exception_fp_ieee_underflow 0
		.amdhsa_exception_fp_ieee_inexact 0
		.amdhsa_exception_int_div_zero 0
	.end_amdhsa_kernel
	.text
.Lfunc_end0:
	.size	fft_rtc_fwd_len1560_factors_13_2_2_10_3_wgs_156_tpt_156_dp_op_CI_CI_unitstride_sbrr_C2R_dirReg, .Lfunc_end0-fft_rtc_fwd_len1560_factors_13_2_2_10_3_wgs_156_tpt_156_dp_op_CI_CI_unitstride_sbrr_C2R_dirReg
                                        ; -- End function
	.section	.AMDGPU.csdata,"",@progbits
; Kernel info:
; codeLenInByte = 11796
; NumSgprs: 52
; NumVgprs: 256
; ScratchSize: 0
; MemoryBound: 0
; FloatMode: 240
; IeeeMode: 1
; LDSByteSize: 0 bytes/workgroup (compile time only)
; SGPRBlocks: 6
; VGPRBlocks: 63
; NumSGPRsForWavesPerEU: 52
; NumVGPRsForWavesPerEU: 256
; Occupancy: 1
; WaveLimiterHint : 1
; COMPUTE_PGM_RSRC2:SCRATCH_EN: 0
; COMPUTE_PGM_RSRC2:USER_SGPR: 6
; COMPUTE_PGM_RSRC2:TRAP_HANDLER: 0
; COMPUTE_PGM_RSRC2:TGID_X_EN: 1
; COMPUTE_PGM_RSRC2:TGID_Y_EN: 0
; COMPUTE_PGM_RSRC2:TGID_Z_EN: 0
; COMPUTE_PGM_RSRC2:TIDIG_COMP_CNT: 0
	.type	__hip_cuid_6ebf9e7551c5df59,@object ; @__hip_cuid_6ebf9e7551c5df59
	.section	.bss,"aw",@nobits
	.globl	__hip_cuid_6ebf9e7551c5df59
__hip_cuid_6ebf9e7551c5df59:
	.byte	0                               ; 0x0
	.size	__hip_cuid_6ebf9e7551c5df59, 1

	.ident	"AMD clang version 19.0.0git (https://github.com/RadeonOpenCompute/llvm-project roc-6.4.0 25133 c7fe45cf4b819c5991fe208aaa96edf142730f1d)"
	.section	".note.GNU-stack","",@progbits
	.addrsig
	.addrsig_sym __hip_cuid_6ebf9e7551c5df59
	.amdgpu_metadata
---
amdhsa.kernels:
  - .args:
      - .actual_access:  read_only
        .address_space:  global
        .offset:         0
        .size:           8
        .value_kind:     global_buffer
      - .offset:         8
        .size:           8
        .value_kind:     by_value
      - .actual_access:  read_only
        .address_space:  global
        .offset:         16
        .size:           8
        .value_kind:     global_buffer
      - .actual_access:  read_only
        .address_space:  global
        .offset:         24
        .size:           8
        .value_kind:     global_buffer
      - .actual_access:  read_only
        .address_space:  global
        .offset:         32
        .size:           8
        .value_kind:     global_buffer
      - .offset:         40
        .size:           8
        .value_kind:     by_value
      - .actual_access:  read_only
        .address_space:  global
        .offset:         48
        .size:           8
        .value_kind:     global_buffer
      - .actual_access:  read_only
        .address_space:  global
        .offset:         56
        .size:           8
        .value_kind:     global_buffer
      - .offset:         64
        .size:           4
        .value_kind:     by_value
      - .actual_access:  read_only
        .address_space:  global
        .offset:         72
        .size:           8
        .value_kind:     global_buffer
      - .actual_access:  read_only
        .address_space:  global
        .offset:         80
        .size:           8
        .value_kind:     global_buffer
      - .actual_access:  read_only
        .address_space:  global
        .offset:         88
        .size:           8
        .value_kind:     global_buffer
      - .actual_access:  write_only
        .address_space:  global
        .offset:         96
        .size:           8
        .value_kind:     global_buffer
    .group_segment_fixed_size: 0
    .kernarg_segment_align: 8
    .kernarg_segment_size: 104
    .language:       OpenCL C
    .language_version:
      - 2
      - 0
    .max_flat_workgroup_size: 156
    .name:           fft_rtc_fwd_len1560_factors_13_2_2_10_3_wgs_156_tpt_156_dp_op_CI_CI_unitstride_sbrr_C2R_dirReg
    .private_segment_fixed_size: 0
    .sgpr_count:     52
    .sgpr_spill_count: 0
    .symbol:         fft_rtc_fwd_len1560_factors_13_2_2_10_3_wgs_156_tpt_156_dp_op_CI_CI_unitstride_sbrr_C2R_dirReg.kd
    .uniform_work_group_size: 1
    .uses_dynamic_stack: false
    .vgpr_count:     256
    .vgpr_spill_count: 0
    .wavefront_size: 64
amdhsa.target:   amdgcn-amd-amdhsa--gfx906
amdhsa.version:
  - 1
  - 2
...

	.end_amdgpu_metadata
